;; amdgpu-corpus repo=ROCm/rocFFT kind=compiled arch=gfx1030 opt=O3
	.text
	.amdgcn_target "amdgcn-amd-amdhsa--gfx1030"
	.amdhsa_code_object_version 6
	.protected	fft_rtc_fwd_len1560_factors_13_2_2_10_3_wgs_156_tpt_156_sp_ip_CI_sbrr_dirReg ; -- Begin function fft_rtc_fwd_len1560_factors_13_2_2_10_3_wgs_156_tpt_156_sp_ip_CI_sbrr_dirReg
	.globl	fft_rtc_fwd_len1560_factors_13_2_2_10_3_wgs_156_tpt_156_sp_ip_CI_sbrr_dirReg
	.p2align	8
	.type	fft_rtc_fwd_len1560_factors_13_2_2_10_3_wgs_156_tpt_156_sp_ip_CI_sbrr_dirReg,@function
fft_rtc_fwd_len1560_factors_13_2_2_10_3_wgs_156_tpt_156_sp_ip_CI_sbrr_dirReg: ; @fft_rtc_fwd_len1560_factors_13_2_2_10_3_wgs_156_tpt_156_sp_ip_CI_sbrr_dirReg
; %bb.0:
	s_clause 0x2
	s_load_dwordx2 s[14:15], s[4:5], 0x18
	s_load_dwordx4 s[8:11], s[4:5], 0x0
	s_load_dwordx2 s[12:13], s[4:5], 0x50
	v_mul_u32_u24_e32 v1, 0x1a5, v0
	v_mov_b32_e32 v3, 0
	v_add_nc_u32_sdwa v5, s6, v1 dst_sel:DWORD dst_unused:UNUSED_PAD src0_sel:DWORD src1_sel:WORD_1
	v_mov_b32_e32 v1, 0
	v_mov_b32_e32 v6, v3
	v_mov_b32_e32 v2, 0
	s_waitcnt lgkmcnt(0)
	s_load_dwordx2 s[2:3], s[14:15], 0x0
	v_cmp_lt_u64_e64 s0, s[10:11], 2
	s_and_b32 vcc_lo, exec_lo, s0
	s_cbranch_vccnz .LBB0_8
; %bb.1:
	s_load_dwordx2 s[0:1], s[4:5], 0x10
	v_mov_b32_e32 v1, 0
	s_add_u32 s6, s14, 8
	v_mov_b32_e32 v2, 0
	s_addc_u32 s7, s15, 0
	s_mov_b64 s[18:19], 1
	s_waitcnt lgkmcnt(0)
	s_add_u32 s16, s0, 8
	s_addc_u32 s17, s1, 0
.LBB0_2:                                ; =>This Inner Loop Header: Depth=1
	s_load_dwordx2 s[20:21], s[16:17], 0x0
                                        ; implicit-def: $vgpr7_vgpr8
	s_mov_b32 s0, exec_lo
	s_waitcnt lgkmcnt(0)
	v_or_b32_e32 v4, s21, v6
	v_cmpx_ne_u64_e32 0, v[3:4]
	s_xor_b32 s1, exec_lo, s0
	s_cbranch_execz .LBB0_4
; %bb.3:                                ;   in Loop: Header=BB0_2 Depth=1
	v_cvt_f32_u32_e32 v4, s20
	v_cvt_f32_u32_e32 v7, s21
	s_sub_u32 s0, 0, s20
	s_subb_u32 s22, 0, s21
	v_fmac_f32_e32 v4, 0x4f800000, v7
	v_rcp_f32_e32 v4, v4
	v_mul_f32_e32 v4, 0x5f7ffffc, v4
	v_mul_f32_e32 v7, 0x2f800000, v4
	v_trunc_f32_e32 v7, v7
	v_fmac_f32_e32 v4, 0xcf800000, v7
	v_cvt_u32_f32_e32 v7, v7
	v_cvt_u32_f32_e32 v4, v4
	v_mul_lo_u32 v8, s0, v7
	v_mul_hi_u32 v9, s0, v4
	v_mul_lo_u32 v10, s22, v4
	v_add_nc_u32_e32 v8, v9, v8
	v_mul_lo_u32 v9, s0, v4
	v_add_nc_u32_e32 v8, v8, v10
	v_mul_hi_u32 v10, v4, v9
	v_mul_lo_u32 v11, v4, v8
	v_mul_hi_u32 v12, v4, v8
	v_mul_hi_u32 v13, v7, v9
	v_mul_lo_u32 v9, v7, v9
	v_mul_hi_u32 v14, v7, v8
	v_mul_lo_u32 v8, v7, v8
	v_add_co_u32 v10, vcc_lo, v10, v11
	v_add_co_ci_u32_e32 v11, vcc_lo, 0, v12, vcc_lo
	v_add_co_u32 v9, vcc_lo, v10, v9
	v_add_co_ci_u32_e32 v9, vcc_lo, v11, v13, vcc_lo
	v_add_co_ci_u32_e32 v10, vcc_lo, 0, v14, vcc_lo
	v_add_co_u32 v8, vcc_lo, v9, v8
	v_add_co_ci_u32_e32 v9, vcc_lo, 0, v10, vcc_lo
	v_add_co_u32 v4, vcc_lo, v4, v8
	v_add_co_ci_u32_e32 v7, vcc_lo, v7, v9, vcc_lo
	v_mul_hi_u32 v8, s0, v4
	v_mul_lo_u32 v10, s22, v4
	v_mul_lo_u32 v9, s0, v7
	v_add_nc_u32_e32 v8, v8, v9
	v_mul_lo_u32 v9, s0, v4
	v_add_nc_u32_e32 v8, v8, v10
	v_mul_hi_u32 v10, v4, v9
	v_mul_lo_u32 v11, v4, v8
	v_mul_hi_u32 v12, v4, v8
	v_mul_hi_u32 v13, v7, v9
	v_mul_lo_u32 v9, v7, v9
	v_mul_hi_u32 v14, v7, v8
	v_mul_lo_u32 v8, v7, v8
	v_add_co_u32 v10, vcc_lo, v10, v11
	v_add_co_ci_u32_e32 v11, vcc_lo, 0, v12, vcc_lo
	v_add_co_u32 v9, vcc_lo, v10, v9
	v_add_co_ci_u32_e32 v9, vcc_lo, v11, v13, vcc_lo
	v_add_co_ci_u32_e32 v10, vcc_lo, 0, v14, vcc_lo
	v_add_co_u32 v8, vcc_lo, v9, v8
	v_add_co_ci_u32_e32 v9, vcc_lo, 0, v10, vcc_lo
	v_add_co_u32 v4, vcc_lo, v4, v8
	v_add_co_ci_u32_e32 v11, vcc_lo, v7, v9, vcc_lo
	v_mul_hi_u32 v13, v5, v4
	v_mad_u64_u32 v[9:10], null, v6, v4, 0
	v_mad_u64_u32 v[7:8], null, v5, v11, 0
	;; [unrolled: 1-line block ×3, first 2 shown]
	v_add_co_u32 v4, vcc_lo, v13, v7
	v_add_co_ci_u32_e32 v7, vcc_lo, 0, v8, vcc_lo
	v_add_co_u32 v4, vcc_lo, v4, v9
	v_add_co_ci_u32_e32 v4, vcc_lo, v7, v10, vcc_lo
	v_add_co_ci_u32_e32 v7, vcc_lo, 0, v12, vcc_lo
	v_add_co_u32 v4, vcc_lo, v4, v11
	v_add_co_ci_u32_e32 v9, vcc_lo, 0, v7, vcc_lo
	v_mul_lo_u32 v10, s21, v4
	v_mad_u64_u32 v[7:8], null, s20, v4, 0
	v_mul_lo_u32 v11, s20, v9
	v_sub_co_u32 v7, vcc_lo, v5, v7
	v_add3_u32 v8, v8, v11, v10
	v_sub_nc_u32_e32 v10, v6, v8
	v_subrev_co_ci_u32_e64 v10, s0, s21, v10, vcc_lo
	v_add_co_u32 v11, s0, v4, 2
	v_add_co_ci_u32_e64 v12, s0, 0, v9, s0
	v_sub_co_u32 v13, s0, v7, s20
	v_sub_co_ci_u32_e32 v8, vcc_lo, v6, v8, vcc_lo
	v_subrev_co_ci_u32_e64 v10, s0, 0, v10, s0
	v_cmp_le_u32_e32 vcc_lo, s20, v13
	v_cmp_eq_u32_e64 s0, s21, v8
	v_cndmask_b32_e64 v13, 0, -1, vcc_lo
	v_cmp_le_u32_e32 vcc_lo, s21, v10
	v_cndmask_b32_e64 v14, 0, -1, vcc_lo
	v_cmp_le_u32_e32 vcc_lo, s20, v7
	;; [unrolled: 2-line block ×3, first 2 shown]
	v_cndmask_b32_e64 v15, 0, -1, vcc_lo
	v_cmp_eq_u32_e32 vcc_lo, s21, v10
	v_cndmask_b32_e64 v7, v15, v7, s0
	v_cndmask_b32_e32 v10, v14, v13, vcc_lo
	v_add_co_u32 v13, vcc_lo, v4, 1
	v_add_co_ci_u32_e32 v14, vcc_lo, 0, v9, vcc_lo
	v_cmp_ne_u32_e32 vcc_lo, 0, v10
	v_cndmask_b32_e32 v8, v14, v12, vcc_lo
	v_cndmask_b32_e32 v10, v13, v11, vcc_lo
	v_cmp_ne_u32_e32 vcc_lo, 0, v7
	v_cndmask_b32_e32 v8, v9, v8, vcc_lo
	v_cndmask_b32_e32 v7, v4, v10, vcc_lo
.LBB0_4:                                ;   in Loop: Header=BB0_2 Depth=1
	s_andn2_saveexec_b32 s0, s1
	s_cbranch_execz .LBB0_6
; %bb.5:                                ;   in Loop: Header=BB0_2 Depth=1
	v_cvt_f32_u32_e32 v4, s20
	s_sub_i32 s1, 0, s20
	v_rcp_iflag_f32_e32 v4, v4
	v_mul_f32_e32 v4, 0x4f7ffffe, v4
	v_cvt_u32_f32_e32 v4, v4
	v_mul_lo_u32 v7, s1, v4
	v_mul_hi_u32 v7, v4, v7
	v_add_nc_u32_e32 v4, v4, v7
	v_mul_hi_u32 v4, v5, v4
	v_mul_lo_u32 v7, v4, s20
	v_add_nc_u32_e32 v8, 1, v4
	v_sub_nc_u32_e32 v7, v5, v7
	v_subrev_nc_u32_e32 v9, s20, v7
	v_cmp_le_u32_e32 vcc_lo, s20, v7
	v_cndmask_b32_e32 v7, v7, v9, vcc_lo
	v_cndmask_b32_e32 v4, v4, v8, vcc_lo
	v_cmp_le_u32_e32 vcc_lo, s20, v7
	v_add_nc_u32_e32 v8, 1, v4
	v_cndmask_b32_e32 v7, v4, v8, vcc_lo
	v_mov_b32_e32 v8, v3
.LBB0_6:                                ;   in Loop: Header=BB0_2 Depth=1
	s_or_b32 exec_lo, exec_lo, s0
	s_load_dwordx2 s[0:1], s[6:7], 0x0
	v_mul_lo_u32 v4, v8, s20
	v_mul_lo_u32 v11, v7, s21
	v_mad_u64_u32 v[9:10], null, v7, s20, 0
	s_add_u32 s18, s18, 1
	s_addc_u32 s19, s19, 0
	s_add_u32 s6, s6, 8
	s_addc_u32 s7, s7, 0
	;; [unrolled: 2-line block ×3, first 2 shown]
	v_add3_u32 v4, v10, v11, v4
	v_sub_co_u32 v5, vcc_lo, v5, v9
	v_sub_co_ci_u32_e32 v4, vcc_lo, v6, v4, vcc_lo
	s_waitcnt lgkmcnt(0)
	v_mul_lo_u32 v6, s1, v5
	v_mul_lo_u32 v4, s0, v4
	v_mad_u64_u32 v[1:2], null, s0, v5, v[1:2]
	v_cmp_ge_u64_e64 s0, s[18:19], s[10:11]
	s_and_b32 vcc_lo, exec_lo, s0
	v_add3_u32 v2, v6, v2, v4
	s_cbranch_vccnz .LBB0_9
; %bb.7:                                ;   in Loop: Header=BB0_2 Depth=1
	v_mov_b32_e32 v5, v7
	v_mov_b32_e32 v6, v8
	s_branch .LBB0_2
.LBB0_8:
	v_mov_b32_e32 v8, v6
	v_mov_b32_e32 v7, v5
.LBB0_9:
	s_lshl_b64 s[0:1], s[10:11], 3
	v_mul_hi_u32 v4, 0x1a41a42, v0
	s_add_u32 s0, s14, s0
	s_addc_u32 s1, s15, s1
                                        ; implicit-def: $vgpr31
                                        ; implicit-def: $vgpr29
                                        ; implicit-def: $vgpr25
                                        ; implicit-def: $vgpr27
                                        ; implicit-def: $vgpr23
                                        ; implicit-def: $vgpr13
                                        ; implicit-def: $vgpr9
                                        ; implicit-def: $vgpr15
                                        ; implicit-def: $vgpr11
	s_load_dwordx2 s[0:1], s[0:1], 0x0
	s_load_dwordx2 s[4:5], s[4:5], 0x20
	s_waitcnt lgkmcnt(0)
	v_mul_lo_u32 v5, s0, v8
	v_mul_lo_u32 v6, s1, v7
	v_mad_u64_u32 v[2:3], null, s0, v7, v[1:2]
	v_mul_u32_u24_e32 v1, 0x9c, v4
	v_cmp_gt_u64_e32 vcc_lo, s[4:5], v[7:8]
                                        ; implicit-def: $vgpr7
	v_sub_nc_u32_e32 v34, v0, v1
	v_add3_u32 v3, v6, v3, v5
	v_mov_b32_e32 v1, 0
	v_mov_b32_e32 v0, 0
                                        ; implicit-def: $vgpr5
	v_cmp_gt_u32_e64 s0, 0x78, v34
	v_lshlrev_b64 v[16:17], 3, v[2:3]
                                        ; implicit-def: $vgpr3
	s_and_b32 s1, vcc_lo, s0
	s_and_saveexec_b32 s4, s1
	s_cbranch_execz .LBB0_11
; %bb.10:
	v_add_nc_u32_e32 v10, 0x78, v34
	v_add_nc_u32_e32 v11, 0xf0, v34
	v_mad_u64_u32 v[0:1], null, s2, v34, 0
	v_add_nc_u32_e32 v12, 0x168, v34
	v_mad_u64_u32 v[2:3], null, s2, v10, 0
	v_mad_u64_u32 v[4:5], null, s2, v11, 0
	;; [unrolled: 1-line block ×3, first 2 shown]
	v_add_nc_u32_e32 v13, 0x1e0, v34
	v_add_nc_u32_e32 v18, 0x258, v34
	v_mad_u64_u32 v[8:9], null, s3, v34, v[1:2]
	v_mad_u64_u32 v[9:10], null, s3, v10, v[3:4]
	v_add_co_u32 v39, s1, s12, v16
	v_add_co_ci_u32_e64 v40, s1, s13, v17, s1
	v_mov_b32_e32 v1, v8
	v_add_nc_u32_e32 v19, 0x2d0, v34
	v_mov_b32_e32 v3, v9
	v_mad_u64_u32 v[8:9], null, s3, v11, v[5:6]
	v_lshlrev_b64 v[0:1], 3, v[0:1]
	v_mad_u64_u32 v[14:15], null, s2, v19, 0
	v_lshlrev_b64 v[2:3], 3, v[2:3]
	v_add_nc_u32_e32 v22, 0x4b0, v34
	v_add_nc_u32_e32 v41, 0x528, v34
	v_mad_u64_u32 v[9:10], null, s3, v12, v[7:8]
	v_mad_u64_u32 v[10:11], null, s2, v13, 0
	v_mov_b32_e32 v5, v8
	v_add_co_u32 v0, s1, v39, v0
	v_add_co_ci_u32_e64 v1, s1, v40, v1, s1
	v_mov_b32_e32 v7, v9
	v_mov_b32_e32 v8, v11
	v_lshlrev_b64 v[4:5], 3, v[4:5]
	v_add_co_u32 v2, s1, v39, v2
	v_lshlrev_b64 v[6:7], 3, v[6:7]
	v_mad_u64_u32 v[8:9], null, s3, v13, v[8:9]
	v_mad_u64_u32 v[12:13], null, s2, v18, 0
	v_add_co_ci_u32_e64 v3, s1, v40, v3, s1
	v_add_co_u32 v4, s1, v39, v4
	v_add_co_ci_u32_e64 v5, s1, v40, v5, s1
	v_mov_b32_e32 v9, v13
	v_mov_b32_e32 v11, v8
	v_add_co_u32 v6, s1, v39, v6
	v_add_co_ci_u32_e64 v7, s1, v40, v7, s1
	v_mad_u64_u32 v[8:9], null, s3, v18, v[9:10]
	v_add_nc_u32_e32 v18, 0x348, v34
	s_clause 0x3
	global_load_dwordx2 v[0:1], v[0:1], off
	global_load_dwordx2 v[30:31], v[2:3], off
	;; [unrolled: 1-line block ×4, first 2 shown]
	v_mov_b32_e32 v4, v15
	v_lshlrev_b64 v[2:3], 3, v[10:11]
	v_add_nc_u32_e32 v11, 0x3c0, v34
	v_mad_u64_u32 v[5:6], null, s2, v18, 0
	v_mov_b32_e32 v13, v8
	v_mad_u64_u32 v[20:21], null, s2, v22, 0
	v_add_co_u32 v2, s1, v39, v2
	v_add_co_ci_u32_e64 v3, s1, v40, v3, s1
	v_mad_u64_u32 v[7:8], null, s3, v19, v[4:5]
	v_mov_b32_e32 v4, v6
	v_lshlrev_b64 v[8:9], 3, v[12:13]
	v_add_nc_u32_e32 v13, 0x438, v34
	v_mad_u64_u32 v[35:36], null, s2, v41, 0
	v_mov_b32_e32 v15, v7
	v_mad_u64_u32 v[6:7], null, s3, v18, v[4:5]
	v_mad_u64_u32 v[18:19], null, s2, v11, 0
	v_add_co_u32 v7, s1, v39, v8
	v_add_co_ci_u32_e64 v8, s1, v40, v9, s1
	v_lshlrev_b64 v[9:10], 3, v[14:15]
	v_mad_u64_u32 v[14:15], null, s2, v13, 0
	v_lshlrev_b64 v[5:6], 3, v[5:6]
	v_mov_b32_e32 v4, v19
	v_add_co_u32 v9, s1, v39, v9
	v_add_co_ci_u32_e64 v10, s1, v40, v10, s1
	v_mad_u64_u32 v[11:12], null, s3, v11, v[4:5]
	v_mov_b32_e32 v4, v15
	v_add_co_u32 v5, s1, v39, v5
	v_add_co_ci_u32_e64 v6, s1, v40, v6, s1
	v_mad_u64_u32 v[32:33], null, s3, v13, v[4:5]
	v_add_nc_u32_e32 v33, 0x5a0, v34
	v_mov_b32_e32 v4, v21
	v_mov_b32_e32 v19, v11
	v_mad_u64_u32 v[37:38], null, s2, v33, 0
	v_mad_u64_u32 v[21:22], null, s3, v22, v[4:5]
	s_clause 0x3
	global_load_dwordx2 v[26:27], v[2:3], off
	global_load_dwordx2 v[22:23], v[7:8], off
	;; [unrolled: 1-line block ×4, first 2 shown]
	v_lshlrev_b64 v[3:4], 3, v[18:19]
	v_mov_b32_e32 v2, v36
	v_mov_b32_e32 v15, v32
	v_mad_u64_u32 v[5:6], null, s3, v41, v[2:3]
	v_mov_b32_e32 v2, v38
	v_add_co_u32 v3, s1, v39, v3
	v_lshlrev_b64 v[6:7], 3, v[14:15]
	v_lshlrev_b64 v[14:15], 3, v[20:21]
	v_add_co_ci_u32_e64 v4, s1, v40, v4, s1
	v_mad_u64_u32 v[8:9], null, s3, v33, v[2:3]
	v_mov_b32_e32 v36, v5
	v_add_co_u32 v5, s1, v39, v6
	v_add_co_ci_u32_e64 v6, s1, v40, v7, s1
	v_lshlrev_b64 v[18:19], 3, v[35:36]
	v_mov_b32_e32 v38, v8
	v_add_co_u32 v20, s1, v39, v14
	v_add_co_ci_u32_e64 v21, s1, v40, v15, s1
	v_lshlrev_b64 v[7:8], 3, v[37:38]
	v_add_co_u32 v18, s1, v39, v18
	v_add_co_ci_u32_e64 v19, s1, v40, v19, s1
	v_add_co_u32 v32, s1, v39, v7
	v_add_co_ci_u32_e64 v33, s1, v40, v8, s1
	s_clause 0x4
	global_load_dwordx2 v[14:15], v[3:4], off
	global_load_dwordx2 v[8:9], v[5:6], off
	;; [unrolled: 1-line block ×5, first 2 shown]
.LBB0_11:
	s_or_b32 exec_lo, exec_lo, s4
	s_waitcnt vmcnt(0)
	v_add_f32_e32 v47, v30, v2
	v_sub_f32_e32 v49, v30, v2
	v_sub_f32_e32 v35, v31, v3
	v_add_f32_e32 v48, v28, v4
	v_add_f32_e32 v38, v31, v3
	v_mul_f32_e32 v58, 0x3f116cb1, v47
	v_mul_f32_e32 v59, 0xbf52af12, v49
	v_sub_f32_e32 v36, v29, v5
	v_mul_f32_e32 v60, 0xbeb58ec6, v48
	v_sub_f32_e32 v50, v28, v4
	v_fmamk_f32 v18, v35, 0xbf52af12, v58
	v_add_f32_e32 v37, v29, v5
	v_fma_f32 v19, 0x3f116cb1, v38, -v59
	v_add_f32_e32 v51, v24, v6
	v_fmamk_f32 v20, v36, 0xbf6f5d39, v60
	v_add_f32_e32 v18, v0, v18
	v_mul_f32_e32 v62, 0xbf6f5d39, v50
	v_sub_f32_e32 v52, v24, v6
	v_add_f32_e32 v19, v1, v19
	v_sub_f32_e32 v39, v25, v7
	v_mul_f32_e32 v61, 0xbf788fa5, v51
	v_add_f32_e32 v18, v18, v20
	v_fma_f32 v20, 0xbeb58ec6, v37, -v62
	v_add_f32_e32 v40, v25, v7
	v_mul_f32_e32 v63, 0xbe750f2a, v52
	v_add_f32_e32 v53, v26, v8
	v_sub_f32_e32 v54, v26, v8
	v_fmamk_f32 v21, v39, 0xbe750f2a, v61
	v_add_f32_e32 v19, v19, v20
	v_fma_f32 v20, 0xbf788fa5, v40, -v63
	v_sub_f32_e32 v41, v27, v9
	v_mul_f32_e32 v64, 0xbf3f9e67, v53
	v_add_f32_e32 v42, v27, v9
	v_add_f32_e32 v55, v22, v14
	v_mul_f32_e32 v68, 0x3f29c268, v54
	v_sub_f32_e32 v56, v22, v14
	v_add_f32_e32 v18, v18, v21
	v_add_f32_e32 v19, v19, v20
	v_fmamk_f32 v20, v41, 0x3f29c268, v64
	v_sub_f32_e32 v43, v23, v15
	v_mul_f32_e32 v66, 0x3df6dbef, v55
	v_fma_f32 v21, 0xbf3f9e67, v42, -v68
	v_add_f32_e32 v44, v23, v15
	v_mul_f32_e32 v67, 0x3f7e222b, v56
	v_add_f32_e32 v18, v18, v20
	v_fmamk_f32 v20, v43, 0x3f7e222b, v66
	v_add_f32_e32 v19, v19, v21
	v_mul_f32_e32 v81, 0x3df6dbef, v47
	v_fma_f32 v21, 0x3df6dbef, v44, -v67
	v_mul_f32_e32 v90, 0xbf7e222b, v49
	v_add_f32_e32 v18, v18, v20
	v_mul_f32_e32 v82, 0xbf788fa5, v48
	v_fmamk_f32 v20, v35, 0xbf7e222b, v81
	v_add_f32_e32 v19, v19, v21
	v_fma_f32 v21, 0x3df6dbef, v38, -v90
	v_mul_f32_e32 v91, 0xbe750f2a, v50
	v_fmamk_f32 v33, v36, 0xbe750f2a, v82
	v_add_f32_e32 v20, v0, v20
	v_mul_f32_e32 v83, 0xbeb58ec6, v51
	v_add_f32_e32 v21, v1, v21
	v_fma_f32 v46, 0xbf788fa5, v37, -v91
	v_mul_f32_e32 v87, 0x3f6f5d39, v52
	v_add_f32_e32 v20, v20, v33
	v_fmamk_f32 v33, v39, 0x3f6f5d39, v83
	v_mul_f32_e32 v84, 0x3f62ad3f, v53
	v_add_f32_e32 v21, v21, v46
	v_fma_f32 v70, 0xbeb58ec6, v40, -v87
	v_mul_f32_e32 v89, 0x3eedf032, v54
	v_add_f32_e32 v57, v12, v10
	v_sub_f32_e32 v65, v12, v10
	v_add_f32_e32 v20, v20, v33
	v_add_f32_e32 v21, v21, v70
	v_fmamk_f32 v33, v41, 0x3eedf032, v84
	v_fma_f32 v70, 0x3f62ad3f, v42, -v89
	v_mul_f32_e32 v85, 0x3f116cb1, v55
	v_mul_f32_e32 v86, 0xbf52af12, v56
	v_sub_f32_e32 v45, v13, v11
	v_mul_f32_e32 v69, 0x3f62ad3f, v57
	v_add_f32_e32 v46, v13, v11
	v_mul_f32_e32 v79, 0x3eedf032, v65
	v_add_f32_e32 v20, v20, v33
	v_add_f32_e32 v21, v21, v70
	v_fmamk_f32 v33, v43, 0xbf52af12, v85
	v_fma_f32 v70, 0x3f116cb1, v44, -v86
	v_mul_f32_e32 v80, 0xbf3f9e67, v57
	v_mul_f32_e32 v88, 0xbf29c268, v65
	v_fmamk_f32 v32, v45, 0x3eedf032, v69
	v_fma_f32 v71, 0x3f62ad3f, v46, -v79
	v_add_f32_e32 v20, v20, v33
	v_add_f32_e32 v21, v21, v70
	v_fmamk_f32 v33, v45, 0xbf29c268, v80
	v_fma_f32 v70, 0xbf3f9e67, v46, -v88
	v_add_f32_e32 v18, v18, v32
	v_add_f32_e32 v19, v19, v71
	;; [unrolled: 1-line block ×4, first 2 shown]
	s_and_saveexec_b32 s1, s0
	s_cbranch_execz .LBB0_13
; %bb.12:
	v_mul_f32_e32 v75, 0xbe750f2a, v49
	v_mul_f32_e32 v72, 0xbf788fa5, v47
	;; [unrolled: 1-line block ×5, first 2 shown]
	v_fmamk_f32 v32, v38, 0xbf788fa5, v75
	v_fmamk_f32 v33, v35, 0x3e750f2a, v72
	v_mul_f32_e32 v70, 0xbf3f9e67, v51
	v_fmamk_f32 v77, v37, 0x3f62ad3f, v78
	v_fmamk_f32 v92, v36, 0xbeedf032, v71
	v_add_f32_e32 v32, v1, v32
	v_add_f32_e32 v33, v0, v33
	v_mul_f32_e32 v76, 0x3f52af12, v54
	v_mul_f32_e32 v74, 0x3f116cb1, v53
	v_fmamk_f32 v93, v40, 0xbf3f9e67, v73
	v_add_f32_e32 v32, v32, v77
	v_fmamk_f32 v94, v39, 0x3f29c268, v70
	v_add_f32_e32 v33, v33, v92
	v_mul_f32_e32 v77, 0xbf6f5d39, v56
	v_fmamk_f32 v95, v42, 0x3f116cb1, v76
	v_add_f32_e32 v32, v32, v93
	v_mul_f32_e32 v92, 0xbf29c268, v49
	v_fmamk_f32 v93, v41, 0xbf52af12, v74
	v_add_f32_e32 v33, v33, v94
	v_fmamk_f32 v96, v44, 0xbeb58ec6, v77
	v_add_f32_e32 v32, v32, v95
	v_mul_f32_e32 v94, 0xbeb58ec6, v55
	v_mul_f32_e32 v95, 0x3f7e222b, v65
	v_fmamk_f32 v97, v38, 0xbf3f9e67, v92
	v_add_f32_e32 v33, v33, v93
	v_mul_f32_e32 v93, 0x3f7e222b, v50
	v_add_f32_e32 v32, v32, v96
	v_fmamk_f32 v96, v43, 0x3f6f5d39, v94
	v_fmamk_f32 v98, v46, 0x3df6dbef, v95
	v_mul_f32_e32 v99, 0x3df6dbef, v57
	v_add_f32_e32 v97, v1, v97
	v_fmamk_f32 v100, v37, 0x3df6dbef, v93
	v_mul_f32_e32 v102, 0xbf3f9e67, v47
	v_mul_f32_e32 v101, 0xbf52af12, v52
	v_add_f32_e32 v96, v33, v96
	v_fmamk_f32 v103, v45, 0xbf7e222b, v99
	v_add_f32_e32 v33, v32, v98
	v_add_f32_e32 v97, v97, v100
	v_fmamk_f32 v98, v35, 0x3f29c268, v102
	v_mul_f32_e32 v100, 0x3df6dbef, v48
	v_fmamk_f32 v104, v40, 0x3f116cb1, v101
	v_mul_f32_e32 v105, 0x3e750f2a, v54
	v_add_f32_e32 v32, v96, v103
	v_add_f32_e32 v96, v0, v98
	v_fmamk_f32 v98, v36, 0xbf7e222b, v100
	v_mul_f32_e32 v103, 0x3f116cb1, v51
	v_add_f32_e32 v31, v1, v31
	v_add_f32_e32 v97, v97, v104
	v_mul_f32_e32 v104, 0xbf788fa5, v53
	v_add_f32_e32 v96, v96, v98
	v_fmamk_f32 v98, v39, 0x3f52af12, v103
	v_fmamk_f32 v106, v42, 0xbf788fa5, v105
	v_mul_f32_e32 v107, 0x3eedf032, v56
	v_add_f32_e32 v31, v31, v29
	v_mul_f32_e32 v108, 0xbf6f5d39, v65
	v_add_f32_e32 v29, v96, v98
	v_fmamk_f32 v96, v41, 0xbe750f2a, v104
	v_mul_f32_e32 v98, 0x3f62ad3f, v55
	v_add_f32_e32 v97, v97, v106
	v_fmamk_f32 v106, v44, 0x3f62ad3f, v107
	v_add_f32_e32 v30, v0, v30
	v_add_f32_e32 v29, v29, v96
	v_fmamk_f32 v96, v43, 0xbeedf032, v98
	v_mul_f32_e32 v109, 0xbf6f5d39, v49
	v_add_f32_e32 v97, v97, v106
	v_fmamk_f32 v106, v46, 0xbeb58ec6, v108
	v_add_f32_e32 v30, v30, v28
	v_add_f32_e32 v28, v29, v96
	v_fmamk_f32 v96, v38, 0xbeb58ec6, v109
	v_mul_f32_e32 v110, 0x3f29c268, v50
	v_add_f32_e32 v29, v97, v106
	v_mul_f32_e32 v106, 0xbeb58ec6, v47
	v_mul_f32_e32 v112, 0x3eedf032, v52
	v_add_f32_e32 v96, v1, v96
	v_fmamk_f32 v111, v37, 0xbf3f9e67, v110
	v_mul_f32_e32 v115, 0xbf3f9e67, v48
	v_fmamk_f32 v114, v35, 0x3f6f5d39, v106
	v_mul_f32_e32 v97, 0xbeb58ec6, v57
	v_mul_f32_e32 v116, 0xbf7e222b, v54
	v_add_f32_e32 v96, v96, v111
	v_fmamk_f32 v111, v40, 0x3f62ad3f, v112
	v_add_f32_e32 v114, v0, v114
	v_fmamk_f32 v117, v36, 0xbf29c268, v115
	v_mul_f32_e32 v118, 0x3f62ad3f, v51
	v_fmamk_f32 v113, v45, 0x3f6f5d39, v97
	v_add_f32_e32 v96, v96, v111
	v_fmamk_f32 v111, v42, 0x3df6dbef, v116
	v_mul_f32_e32 v119, 0x3e750f2a, v56
	v_add_f32_e32 v114, v114, v117
	v_fmamk_f32 v117, v39, 0xbeedf032, v118
	v_mul_f32_e32 v120, 0x3df6dbef, v53
	v_add_f32_e32 v28, v28, v113
	v_add_f32_e32 v96, v96, v111
	v_fmamk_f32 v111, v44, 0xbf788fa5, v119
	v_add_f32_e32 v113, v114, v117
	v_fmamk_f32 v114, v41, 0x3f7e222b, v120
	v_add_f32_e32 v30, v30, v24
	v_mul_f32_e32 v24, 0xbf788fa5, v37
	v_add_f32_e32 v31, v31, v25
	v_add_f32_e32 v25, v96, v111
	v_add_f32_e32 v96, v113, v114
	v_mul_f32_e32 v113, 0x3df6dbef, v38
	v_add_f32_e32 v24, v24, v91
	v_mul_f32_e32 v91, 0xbf7e222b, v35
	v_mul_f32_e32 v122, 0xbe750f2a, v36
	v_add_f32_e32 v30, v30, v26
	v_add_f32_e32 v90, v113, v90
	v_mul_f32_e32 v113, 0xbeb58ec6, v40
	v_sub_f32_e32 v81, v81, v91
	v_sub_f32_e32 v82, v82, v122
	v_add_f32_e32 v31, v31, v27
	v_mul_f32_e32 v49, 0xbeedf032, v49
	v_add_f32_e32 v87, v113, v87
	v_add_f32_e32 v81, v0, v81
	v_mul_f32_e32 v113, 0x3f6f5d39, v39
	v_add_f32_e32 v31, v31, v23
	;; [unrolled: 3-line block ×3, first 2 shown]
	v_sub_f32_e32 v82, v83, v113
	v_mul_f32_e32 v83, 0x3eedf032, v41
	v_mul_f32_e32 v52, 0xbf7e222b, v52
	;; [unrolled: 1-line block ×4, first 2 shown]
	v_add_f32_e32 v81, v81, v82
	v_sub_f32_e32 v82, v84, v83
	v_mul_f32_e32 v83, 0xbf52af12, v43
	v_add_f32_e32 v13, v31, v13
	v_add_f32_e32 v12, v30, v12
	v_fmac_f32_e32 v72, 0xbe750f2a, v35
	v_add_f32_e32 v26, v81, v82
	v_sub_f32_e32 v81, v85, v83
	v_mul_f32_e32 v83, 0x3f116cb1, v38
	v_mul_f32_e32 v85, 0xbeb58ec6, v37
	v_add_f32_e32 v13, v13, v11
	v_add_f32_e32 v12, v12, v10
	;; [unrolled: 1-line block ×3, first 2 shown]
	v_mul_f32_e32 v81, 0xbf52af12, v35
	v_add_f32_e32 v59, v83, v59
	v_mul_f32_e32 v83, 0xbf6f5d39, v36
	v_add_f32_e32 v62, v85, v62
	v_add_f32_e32 v13, v15, v13
	v_sub_f32_e32 v58, v58, v81
	v_add_f32_e32 v59, v1, v59
	v_mul_f32_e32 v81, 0xbf788fa5, v40
	v_sub_f32_e32 v60, v60, v83
	v_mul_f32_e32 v83, 0xbe750f2a, v39
	v_add_f32_e32 v58, v0, v58
	v_add_f32_e32 v59, v59, v62
	;; [unrolled: 1-line block ×3, first 2 shown]
	v_mul_f32_e32 v63, 0xbf3f9e67, v42
	v_add_f32_e32 v9, v9, v13
	v_add_f32_e32 v58, v58, v60
	v_sub_f32_e32 v60, v61, v83
	v_mul_f32_e32 v61, 0x3f29c268, v41
	v_add_f32_e32 v59, v59, v62
	v_add_f32_e32 v62, v63, v68
	v_mul_f32_e32 v63, 0x3f7e222b, v43
	v_add_f32_e32 v58, v58, v60
	v_mul_f32_e32 v60, 0x3df6dbef, v44
	v_sub_f32_e32 v61, v64, v61
	v_add_f32_e32 v59, v59, v62
	v_sub_f32_e32 v62, v66, v63
	v_mul_f32_e32 v63, 0x3eedf032, v45
	v_add_f32_e32 v60, v60, v67
	v_add_f32_e32 v58, v58, v61
	v_mul_f32_e32 v61, 0x3f62ad3f, v46
	v_add_f32_e32 v12, v14, v12
	v_fma_f32 v14, 0xbf3f9e67, v40, -v73
	v_add_f32_e32 v23, v59, v60
	v_add_f32_e32 v58, v58, v62
	v_sub_f32_e32 v60, v69, v63
	v_add_f32_e32 v59, v61, v79
	v_mul_f32_e32 v61, 0xbe750f2a, v65
	v_fmac_f32_e32 v71, 0x3eedf032, v36
	v_add_f32_e32 v7, v7, v9
	v_add_f32_e32 v22, v58, v60
	v_fmamk_f32 v58, v38, 0x3f62ad3f, v49
	v_add_f32_e32 v23, v23, v59
	v_fmamk_f32 v59, v37, 0x3f116cb1, v50
	v_add_f32_e32 v8, v8, v12
	v_fma_f32 v12, 0x3f116cb1, v42, -v76
	v_add_f32_e32 v58, v1, v58
	v_fmac_f32_e32 v70, 0xbf29c268, v39
	v_add_f32_e32 v5, v5, v7
	v_add_f32_e32 v6, v6, v8
	v_fma_f32 v8, 0xbeb58ec6, v44, -v77
	v_add_f32_e32 v58, v58, v59
	v_fmamk_f32 v59, v40, 0x3df6dbef, v52
	v_fmac_f32_e32 v74, 0x3f52af12, v41
	v_add_f32_e32 v3, v3, v5
	v_add_f32_e32 v4, v4, v6
	v_fma_f32 v6, 0x3df6dbef, v46, -v95
	v_add_f32_e32 v58, v58, v59
	v_fmamk_f32 v59, v42, 0xbeb58ec6, v54
	v_fmac_f32_e32 v94, 0xbf6f5d39, v43
	v_fmac_f32_e32 v102, 0xbf29c268, v35
	v_add_f32_e32 v2, v2, v4
	v_fmac_f32_e32 v100, 0x3f7e222b, v36
	v_add_f32_e32 v58, v58, v59
	v_fmamk_f32 v59, v44, 0xbf3f9e67, v56
	v_fmac_f32_e32 v103, 0xbf52af12, v39
	v_fmac_f32_e32 v104, 0x3e750f2a, v41
	v_mul_f32_e32 v47, 0x3f62ad3f, v47
	v_fmac_f32_e32 v98, 0x3eedf032, v43
	v_add_f32_e32 v30, v58, v59
	v_fmamk_f32 v58, v46, 0xbf788fa5, v61
	v_fma_f32 v59, 0xbf788fa5, v38, -v75
	v_fmamk_f32 v31, v35, 0x3eedf032, v47
	v_mul_f32_e32 v48, 0x3f116cb1, v48
	v_fmac_f32_e32 v97, 0xbf6f5d39, v45
	v_add_f32_e32 v11, v30, v58
	v_add_f32_e32 v15, v1, v59
	v_fma_f32 v58, 0x3f62ad3f, v37, -v78
	v_fmac_f32_e32 v106, 0xbf6f5d39, v35
	v_add_f32_e32 v31, v0, v31
	v_fmamk_f32 v60, v36, 0x3f52af12, v48
	v_mul_f32_e32 v51, 0x3df6dbef, v51
	v_add_f32_e32 v13, v15, v58
	v_add_f32_e32 v15, v0, v72
	v_fmac_f32_e32 v47, 0xbeedf032, v35
	v_add_f32_e32 v90, v1, v90
	v_fmac_f32_e32 v115, 0x3f29c268, v36
	v_add_f32_e32 v9, v13, v14
	v_add_f32_e32 v13, v15, v71
	v_mul_f32_e32 v117, 0xbf788fa5, v55
	v_add_f32_e32 v31, v31, v60
	v_fmamk_f32 v60, v39, 0x3f7e222b, v51
	v_add_f32_e32 v7, v9, v12
	v_add_f32_e32 v9, v13, v70
	v_fma_f32 v12, 0xbf3f9e67, v37, -v110
	v_add_f32_e32 v13, v0, v106
	v_mul_f32_e32 v53, 0xbeb58ec6, v53
	v_add_f32_e32 v5, v7, v8
	v_add_f32_e32 v7, v9, v74
	v_fma_f32 v8, 0xbf3f9e67, v38, -v92
	v_fma_f32 v9, 0xbeb58ec6, v38, -v109
	v_fmac_f32_e32 v48, 0xbf52af12, v36
	v_add_f32_e32 v5, v5, v6
	v_add_f32_e32 v4, v7, v94
	;; [unrolled: 1-line block ×3, first 2 shown]
	v_fma_f32 v7, 0x3df6dbef, v37, -v93
	v_add_f32_e32 v8, v0, v102
	v_add_f32_e32 v9, v1, v9
	;; [unrolled: 1-line block ×5, first 2 shown]
	v_fma_f32 v7, 0x3f116cb1, v40, -v101
	v_add_f32_e32 v8, v8, v100
	v_add_f32_e32 v9, v9, v12
	v_fma_f32 v12, 0x3f62ad3f, v40, -v112
	v_mul_f32_e32 v91, 0x3f62ad3f, v42
	v_add_f32_e32 v6, v6, v7
	v_fma_f32 v7, 0xbf788fa5, v42, -v105
	v_add_f32_e32 v8, v8, v103
	v_add_f32_e32 v9, v9, v12
	v_fma_f32 v12, 0x3df6dbef, v42, -v116
	v_add_f32_e32 v13, v13, v115
	;; [unrolled: 3-line block ×3, first 2 shown]
	v_add_f32_e32 v9, v9, v12
	v_fma_f32 v12, 0xbf788fa5, v44, -v119
	v_fmac_f32_e32 v118, 0x3eedf032, v39
	v_add_f32_e32 v6, v6, v7
	v_fma_f32 v7, 0xbeb58ec6, v46, -v108
	v_add_f32_e32 v8, v8, v98
	v_fmamk_f32 v111, v43, 0xbe750f2a, v117
	v_add_f32_e32 v31, v31, v60
	v_fmamk_f32 v60, v41, 0x3f6f5d39, v53
	v_add_f32_e32 v7, v6, v7
	v_add_f32_e32 v6, v8, v97
	;; [unrolled: 1-line block ×3, first 2 shown]
	v_fma_f32 v9, 0x3f62ad3f, v38, -v49
	v_mul_f32_e32 v55, 0xbf3f9e67, v55
	v_add_f32_e32 v0, v0, v48
	v_fmac_f32_e32 v51, 0xbf7e222b, v39
	v_add_f32_e32 v87, v90, v87
	v_add_f32_e32 v1, v1, v9
	v_fma_f32 v9, 0x3f116cb1, v37, -v50
	v_add_f32_e32 v89, v91, v89
	v_mul_f32_e32 v27, 0x3f116cb1, v44
	v_mul_f32_e32 v84, 0xbf3f9e67, v46
	;; [unrolled: 1-line block ×3, first 2 shown]
	v_add_f32_e32 v1, v1, v9
	v_fma_f32 v9, 0x3df6dbef, v40, -v52
	v_add_f32_e32 v13, v13, v118
	v_fmac_f32_e32 v120, 0xbf7e222b, v41
	v_add_f32_e32 v96, v96, v111
	v_mul_f32_e32 v111, 0x3f116cb1, v57
	v_add_f32_e32 v31, v31, v60
	v_fmamk_f32 v60, v43, 0x3f29c268, v55
	v_mul_f32_e32 v57, 0xbf788fa5, v57
	v_add_f32_e32 v1, v1, v9
	v_fma_f32 v9, 0xbeb58ec6, v42, -v54
	v_add_f32_e32 v0, v0, v51
	v_fmac_f32_e32 v53, 0xbf6f5d39, v41
	v_add_f32_e32 v87, v87, v89
	v_add_f32_e32 v27, v27, v86
	;; [unrolled: 1-line block ×3, first 2 shown]
	v_mul_f32_e32 v84, 0xbf29c268, v45
	v_fmamk_f32 v114, v46, 0x3f116cb1, v121
	v_add_f32_e32 v13, v13, v120
	v_fmac_f32_e32 v117, 0x3e750f2a, v43
	v_add_f32_e32 v31, v31, v60
	v_fmamk_f32 v30, v45, 0x3e750f2a, v57
	v_add_f32_e32 v1, v1, v9
	v_fma_f32 v9, 0xbf3f9e67, v44, -v56
	v_add_f32_e32 v0, v0, v53
	v_fmac_f32_e32 v55, 0xbf29c268, v43
	v_add_f32_e32 v27, v87, v27
	v_sub_f32_e32 v80, v80, v84
	v_add_f32_e32 v25, v25, v114
	v_fmamk_f32 v114, v45, 0xbf52af12, v111
	v_fmac_f32_e32 v99, 0x3f7e222b, v45
	v_fma_f32 v12, 0x3f116cb1, v46, -v121
	v_add_f32_e32 v13, v13, v117
	v_fmac_f32_e32 v111, 0x3f52af12, v45
	v_add_f32_e32 v10, v31, v30
	v_add_f32_e32 v9, v1, v9
	v_fma_f32 v14, 0xbf788fa5, v46, -v61
	v_add_f32_e32 v15, v0, v55
	v_fmac_f32_e32 v57, 0xbe750f2a, v45
	v_mad_u32_u24 v30, 0x68, v34, 0
	v_add_f32_e32 v27, v27, v82
	v_add_f32_e32 v26, v26, v80
	;; [unrolled: 1-line block ×8, first 2 shown]
	ds_write2_b64 v30, v[2:3], v[10:11] offset1:1
	ds_write2_b64 v30, v[22:23], v[26:27] offset0:2 offset1:3
	ds_write2_b64 v30, v[24:25], v[28:29] offset0:4 offset1:5
	;; [unrolled: 1-line block ×5, first 2 shown]
	ds_write_b64 v30, v[8:9] offset:96
.LBB0_13:
	s_or_b32 exec_lo, exec_lo, s1
	v_and_b32_e32 v0, 0xff, v34
	v_add_nc_u32_e32 v29, 0x9c, v34
	v_mov_b32_e32 v1, 0x4ec5
	v_add_nc_u32_e32 v30, 0x138, v34
	v_add_nc_u32_e32 v28, 0x1d4, v34
	v_mul_lo_u16 v15, 0x4f, v0
	v_add_nc_u32_e32 v49, 0x270, v34
	v_mul_u32_u24_sdwa v27, v29, v1 dst_sel:DWORD dst_unused:UNUSED_PAD src0_sel:WORD_0 src1_sel:DWORD
	v_mul_u32_u24_sdwa v50, v30, v1 dst_sel:DWORD dst_unused:UNUSED_PAD src0_sel:WORD_0 src1_sel:DWORD
	;; [unrolled: 1-line block ×3, first 2 shown]
	v_lshrrev_b16 v33, 10, v15
	v_mul_u32_u24_sdwa v53, v49, v1 dst_sel:DWORD dst_unused:UNUSED_PAD src0_sel:WORD_0 src1_sel:DWORD
	v_lshrrev_b32_e32 v52, 18, v27
	v_lshrrev_b32_e32 v54, 18, v50
	;; [unrolled: 1-line block ×3, first 2 shown]
	v_mul_lo_u16 v0, v33, 13
	v_lshrrev_b32_e32 v56, 18, v53
	v_mul_lo_u16 v1, v52, 13
	v_mul_lo_u16 v3, v54, 13
	v_mul_lo_u16 v4, v55, 13
	v_sub_nc_u16 v2, v34, v0
	v_mov_b32_e32 v0, 3
	v_sub_nc_u16 v1, v29, v1
	v_mul_lo_u16 v5, v56, 13
	v_sub_nc_u16 v3, v30, v3
	s_waitcnt lgkmcnt(0)
	v_lshlrev_b32_sdwa v57, v0, v2 dst_sel:DWORD dst_unused:UNUSED_PAD src0_sel:DWORD src1_sel:BYTE_0
	v_sub_nc_u16 v2, v28, v4
	v_lshlrev_b32_sdwa v58, v0, v1 dst_sel:DWORD dst_unused:UNUSED_PAD src0_sel:DWORD src1_sel:WORD_0
	v_sub_nc_u16 v1, v49, v5
	v_lshlrev_b32_sdwa v59, v0, v3 dst_sel:DWORD dst_unused:UNUSED_PAD src0_sel:DWORD src1_sel:WORD_0
	s_barrier
	buffer_gl0_inv
	s_clause 0x1
	global_load_dwordx2 v[13:14], v57, s[8:9]
	global_load_dwordx2 v[22:23], v58, s[8:9]
	v_lshlrev_b32_sdwa v60, v0, v2 dst_sel:DWORD dst_unused:UNUSED_PAD src0_sel:DWORD src1_sel:WORD_0
	v_lshlrev_b32_sdwa v61, v0, v1 dst_sel:DWORD dst_unused:UNUSED_PAD src0_sel:DWORD src1_sel:WORD_0
	s_clause 0x2
	global_load_dwordx2 v[25:26], v59, s[8:9]
	global_load_dwordx2 v[31:32], v60, s[8:9]
	;; [unrolled: 1-line block ×3, first 2 shown]
	v_lshl_add_u32 v24, v34, 3, 0
	v_mov_b32_e32 v62, 0xd0
	v_mul_u32_u24_e32 v52, 0xd0, v52
	v_mul_u32_u24_e32 v54, 0xd0, v54
	;; [unrolled: 1-line block ×3, first 2 shown]
	v_add_nc_u32_e32 v3, 0x1200, v24
	v_add_nc_u32_e32 v2, 0x1c00, v24
	;; [unrolled: 1-line block ×4, first 2 shown]
	ds_read2_b64 v[5:8], v24 offset1:156
	ds_read2_b64 v[9:12], v3 offset0:48 offset1:204
	ds_read2_b64 v[35:38], v2 offset0:40 offset1:196
	;; [unrolled: 1-line block ×4, first 2 shown]
	v_mul_u32_u24_sdwa v33, v33, v62 dst_sel:DWORD dst_unused:UNUSED_PAD src0_sel:WORD_0 src1_sel:DWORD
	v_mul_u32_u24_e32 v56, 0xd0, v56
	v_lshrrev_b16 v63, 11, v15
	v_lshrrev_b32_e32 v27, 19, v27
	v_add3_u32 v52, 0, v52, v58
	v_add3_u32 v33, 0, v33, v57
	;; [unrolled: 1-line block ×4, first 2 shown]
	v_lshrrev_b32_e32 v50, 19, v50
	v_add3_u32 v56, 0, v56, v61
	v_lshrrev_b32_e32 v51, 19, v51
	v_mul_lo_u16 v62, v63, 26
	v_lshrrev_b32_e32 v53, 19, v53
	v_mul_lo_u16 v64, v27, 26
	v_mul_lo_u16 v65, v50, 26
	;; [unrolled: 1-line block ×3, first 2 shown]
	v_sub_nc_u16 v62, v34, v62
	v_mul_lo_u16 v67, v53, 26
	v_sub_nc_u16 v64, v29, v64
	v_sub_nc_u16 v65, v30, v65
	;; [unrolled: 1-line block ×3, first 2 shown]
	v_lshlrev_b32_sdwa v62, v0, v62 dst_sel:DWORD dst_unused:UNUSED_PAD src0_sel:DWORD src1_sel:BYTE_0
	v_sub_nc_u16 v49, v49, v67
	v_lshlrev_b32_sdwa v64, v0, v64 dst_sel:DWORD dst_unused:UNUSED_PAD src0_sel:DWORD src1_sel:WORD_0
	v_lshlrev_b32_sdwa v65, v0, v65 dst_sel:DWORD dst_unused:UNUSED_PAD src0_sel:DWORD src1_sel:WORD_0
	s_waitcnt vmcnt(0) lgkmcnt(0)
	s_barrier
	buffer_gl0_inv
	v_lshrrev_b16 v15, 12, v15
	v_mul_u32_u24_e32 v27, 0x1a0, v27
	v_cmp_gt_u32_e64 s0, 52, v34
	v_add3_u32 v27, 0, v27, v64
	v_mul_f32_e32 v57, v14, v12
	v_mul_f32_e32 v14, v14, v11
	;; [unrolled: 1-line block ×10, first 2 shown]
	v_fma_f32 v11, v13, v11, -v57
	v_fmac_f32_e32 v14, v13, v12
	v_fma_f32 v13, v22, v35, -v58
	v_fmac_f32_e32 v23, v22, v36
	;; [unrolled: 2-line block ×5, first 2 shown]
	v_sub_f32_e32 v11, v5, v11
	v_sub_f32_e32 v12, v6, v14
	;; [unrolled: 1-line block ×10, first 2 shown]
	v_fma_f32 v5, v5, 2.0, -v11
	v_fma_f32 v6, v6, 2.0, -v12
	;; [unrolled: 1-line block ×10, first 2 shown]
	ds_write2_b64 v33, v[5:6], v[11:12] offset1:13
	ds_write2_b64 v52, v[7:8], v[13:14] offset1:13
	;; [unrolled: 1-line block ×5, first 2 shown]
	s_waitcnt lgkmcnt(0)
	s_barrier
	buffer_gl0_inv
	s_clause 0x1
	global_load_dwordx2 v[13:14], v62, s[8:9] offset:104
	global_load_dwordx2 v[22:23], v64, s[8:9] offset:104
	v_lshlrev_b32_sdwa v33, v0, v66 dst_sel:DWORD dst_unused:UNUSED_PAD src0_sel:DWORD src1_sel:WORD_0
	v_lshlrev_b32_sdwa v39, v0, v49 dst_sel:DWORD dst_unused:UNUSED_PAD src0_sel:DWORD src1_sel:WORD_0
	s_clause 0x2
	global_load_dwordx2 v[25:26], v65, s[8:9] offset:104
	global_load_dwordx2 v[31:32], v33, s[8:9] offset:104
	;; [unrolled: 1-line block ×3, first 2 shown]
	v_mov_b32_e32 v5, 0x1a0
	v_mul_lo_u16 v35, v15, 52
	v_mov_b32_e32 v40, 9
	ds_read2_b64 v[9:12], v2 offset0:40 offset1:196
	v_mul_u32_u24_e32 v42, 0x1a0, v50
	v_mul_u32_u24_sdwa v41, v63, v5 dst_sel:DWORD dst_unused:UNUSED_PAD src0_sel:WORD_0 src1_sel:DWORD
	ds_read2_b64 v[5:8], v3 offset0:48 offset1:204
	v_sub_nc_u16 v52, v34, v35
	ds_read2_b64 v[35:38], v1 offset0:96 offset1:252
	v_mul_u32_u24_e32 v43, 0x1a0, v51
	v_mul_u32_u24_e32 v44, 0x1a0, v53
	v_add3_u32 v49, 0, v41, v62
	v_mul_u32_u24_sdwa v40, v52, v40 dst_sel:DWORD dst_unused:UNUSED_PAD src0_sel:BYTE_0 src1_sel:DWORD
	v_add3_u32 v50, 0, v42, v65
	v_add3_u32 v33, 0, v43, v33
	;; [unrolled: 1-line block ×3, first 2 shown]
	v_lshlrev_b32_sdwa v0, v0, v52 dst_sel:DWORD dst_unused:UNUSED_PAD src0_sel:DWORD src1_sel:BYTE_0
	v_lshlrev_b32_e32 v53, 3, v40
	ds_read2_b64 v[39:42], v24 offset1:156
	ds_read2_b64 v[43:46], v4 offset0:56 offset1:212
	s_waitcnt vmcnt(0) lgkmcnt(0)
	s_barrier
	buffer_gl0_inv
	v_mul_f32_e32 v54, v14, v8
	v_mul_f32_e32 v14, v14, v7
	;; [unrolled: 1-line block ×10, first 2 shown]
	v_fma_f32 v7, v13, v7, -v54
	v_fmac_f32_e32 v14, v13, v8
	v_fma_f32 v9, v22, v9, -v55
	v_fmac_f32_e32 v23, v22, v10
	;; [unrolled: 2-line block ×5, first 2 shown]
	v_sub_f32_e32 v7, v39, v7
	v_sub_f32_e32 v8, v40, v14
	;; [unrolled: 1-line block ×10, first 2 shown]
	v_fma_f32 v25, v39, 2.0, -v7
	v_fma_f32 v26, v40, 2.0, -v8
	;; [unrolled: 1-line block ×10, first 2 shown]
	ds_write2_b64 v49, v[25:26], v[7:8] offset1:26
	ds_write2_b64 v27, v[31:32], v[9:10] offset1:26
	;; [unrolled: 1-line block ×5, first 2 shown]
	s_waitcnt lgkmcnt(0)
	s_barrier
	buffer_gl0_inv
	s_clause 0x4
	global_load_dwordx4 v[5:8], v53, s[8:9] offset:312
	global_load_dwordx4 v[9:12], v53, s[8:9] offset:328
	;; [unrolled: 1-line block ×4, first 2 shown]
	global_load_dwordx2 v[13:14], v53, s[8:9] offset:376
	v_mov_b32_e32 v22, 0x1040
	ds_read2_b64 v[43:46], v24 offset1:156
	ds_read2_b64 v[47:50], v4 offset0:56 offset1:212
	ds_read2_b64 v[51:54], v3 offset0:48 offset1:204
	;; [unrolled: 1-line block ×3, first 2 shown]
	v_add_nc_u32_e32 v31, 0x900, v24
	v_mul_u32_u24_sdwa v4, v15, v22 dst_sel:DWORD dst_unused:UNUSED_PAD src0_sel:WORD_0 src1_sel:DWORD
	v_add_nc_u32_e32 v32, 0x2000, v24
	v_add_nc_u32_e32 v33, 0x1400, v24
	v_add3_u32 v27, 0, v4, v0
	ds_read2_b64 v[0:3], v1 offset0:96 offset1:252
	s_waitcnt vmcnt(0) lgkmcnt(0)
	s_barrier
	buffer_gl0_inv
	v_add_nc_u32_e32 v59, 0x400, v27
	v_add_nc_u32_e32 v60, 0x800, v27
	v_mul_f32_e32 v4, v6, v46
	v_mul_f32_e32 v6, v6, v45
	v_mul_f32_e32 v15, v8, v48
	v_mul_f32_e32 v8, v8, v47
	v_mul_f32_e32 v22, v10, v50
	v_mul_f32_e32 v10, v10, v49
	v_mul_f32_e32 v23, v12, v52
	v_mul_f32_e32 v12, v12, v51
	v_mul_f32_e32 v25, v36, v54
	v_mul_f32_e32 v26, v36, v53
	v_mul_f32_e32 v36, v56, v38
	v_mul_f32_e32 v38, v55, v38
	v_mul_f32_e32 v61, v58, v40
	v_mul_f32_e32 v40, v57, v40
	v_mul_f32_e32 v62, v1, v42
	v_mul_f32_e32 v42, v0, v42
	v_mul_f32_e32 v63, v3, v14
	v_mul_f32_e32 v14, v2, v14
	v_fma_f32 v4, v5, v45, -v4
	v_fmac_f32_e32 v6, v5, v46
	v_fma_f32 v5, v7, v47, -v15
	v_fmac_f32_e32 v8, v7, v48
	;; [unrolled: 2-line block ×9, first 2 shown]
	v_add_f32_e32 v2, v43, v5
	v_add_f32_e32 v3, v9, v15
	v_sub_f32_e32 v25, v5, v9
	v_sub_f32_e32 v35, v0, v15
	;; [unrolled: 1-line block ×4, first 2 shown]
	v_add_f32_e32 v45, v12, v38
	v_add_f32_e32 v49, v8, v42
	;; [unrolled: 1-line block ×9, first 2 shown]
	v_sub_f32_e32 v46, v9, v15
	v_sub_f32_e32 v53, v10, v14
	;; [unrolled: 1-line block ×9, first 2 shown]
	v_add_f32_e32 v2, v2, v9
	v_fma_f32 v69, -0.5, v3, v43
	v_add_f32_e32 v3, v25, v35
	v_add_f32_e32 v9, v37, v39
	v_fma_f32 v35, -0.5, v45, v44
	v_fma_f32 v37, -0.5, v49, v44
	v_add_f32_e32 v11, v51, v11
	v_fma_f32 v39, -0.5, v52, v4
	v_add_f32_e32 v26, v62, v26
	v_fma_f32 v44, -0.5, v63, v6
	v_sub_f32_e32 v13, v8, v42
	v_sub_f32_e32 v47, v8, v12
	;; [unrolled: 1-line block ×4, first 2 shown]
	v_fmac_f32_e32 v4, -0.5, v57
	v_fmac_f32_e32 v6, -0.5, v67
	v_add_f32_e32 v36, v5, v0
	v_sub_f32_e32 v23, v12, v38
	v_sub_f32_e32 v48, v42, v38
	;; [unrolled: 1-line block ×6, first 2 shown]
	v_add_f32_e32 v12, v41, v12
	v_add_f32_e32 v11, v11, v22
	v_fmamk_f32 v22, v53, 0x3f737871, v39
	v_add_f32_e32 v26, v26, v40
	v_fmamk_f32 v40, v7, 0xbf737871, v44
	;; [unrolled: 2-line block ×3, first 2 shown]
	v_fmac_f32_e32 v4, 0x3f737871, v54
	v_fmamk_f32 v50, v64, 0x3f737871, v6
	v_fmac_f32_e32 v6, 0xbf737871, v64
	v_fma_f32 v25, -0.5, v36, v43
	v_fmac_f32_e32 v39, 0xbf737871, v53
	v_fmac_f32_e32 v44, 0x3f737871, v7
	v_sub_f32_e32 v5, v5, v0
	v_add_f32_e32 v36, v47, v48
	v_add_f32_e32 v41, v55, v56
	;; [unrolled: 1-line block ×4, first 2 shown]
	v_fmamk_f32 v15, v13, 0x3f737871, v69
	v_fmac_f32_e32 v69, 0xbf737871, v13
	v_add_f32_e32 v12, v12, v38
	v_fmamk_f32 v48, v46, 0x3f737871, v37
	v_fmac_f32_e32 v37, 0xbf737871, v46
	v_fmac_f32_e32 v22, 0x3f167918, v54
	;; [unrolled: 1-line block ×3, first 2 shown]
	v_add_f32_e32 v43, v58, v61
	v_add_f32_e32 v10, v10, v68
	v_fmac_f32_e32 v49, 0x3f167918, v53
	v_fmac_f32_e32 v4, 0xbf167918, v53
	;; [unrolled: 1-line block ×4, first 2 shown]
	v_fmamk_f32 v47, v23, 0xbf737871, v25
	v_fmac_f32_e32 v25, 0x3f737871, v23
	v_fmac_f32_e32 v39, 0xbf167918, v54
	;; [unrolled: 1-line block ×3, first 2 shown]
	v_fmamk_f32 v38, v5, 0xbf737871, v35
	v_fmac_f32_e32 v35, 0x3f737871, v5
	v_fmac_f32_e32 v15, 0x3f167918, v23
	;; [unrolled: 1-line block ×3, first 2 shown]
	v_add_f32_e32 v12, v12, v42
	v_fmac_f32_e32 v48, 0xbf167918, v5
	v_fmac_f32_e32 v37, 0x3f167918, v5
	v_add_f32_e32 v5, v11, v1
	v_add_f32_e32 v11, v26, v14
	v_fmac_f32_e32 v22, 0x3e9e377a, v41
	v_fmac_f32_e32 v40, 0x3e9e377a, v45
	v_add_f32_e32 v2, v2, v0
	v_fmac_f32_e32 v49, 0x3e9e377a, v43
	v_fmac_f32_e32 v4, 0x3e9e377a, v43
	;; [unrolled: 1-line block ×11, first 2 shown]
	v_add_f32_e32 v1, v12, v11
	v_sub_f32_e32 v3, v12, v11
	v_mul_f32_e32 v12, 0x3f167918, v40
	v_mul_f32_e32 v23, 0xbf167918, v22
	v_fmac_f32_e32 v48, 0x3e9e377a, v8
	v_fmac_f32_e32 v37, 0x3e9e377a, v8
	v_add_f32_e32 v0, v2, v5
	v_sub_f32_e32 v2, v2, v5
	v_mul_f32_e32 v13, 0x3f737871, v50
	v_mul_f32_e32 v5, 0x3e9e377a, v4
	;; [unrolled: 1-line block ×4, first 2 shown]
	v_fmac_f32_e32 v35, 0x3f167918, v46
	v_fmac_f32_e32 v47, 0x3e9e377a, v9
	;; [unrolled: 1-line block ×3, first 2 shown]
	v_mul_f32_e32 v7, 0x3f4f1bbd, v39
	v_mul_f32_e32 v9, 0x3f4f1bbd, v44
	v_fmac_f32_e32 v38, 0x3e9e377a, v36
	v_fmac_f32_e32 v12, 0x3f4f1bbd, v22
	;; [unrolled: 1-line block ×4, first 2 shown]
	v_fma_f32 v22, 0x3f737871, v6, -v5
	v_fmac_f32_e32 v26, 0x3e9e377a, v50
	v_fma_f32 v40, 0xbf737871, v4, -v8
	v_fmac_f32_e32 v35, 0x3e9e377a, v36
	v_fma_f32 v36, 0x3f167918, v44, -v7
	v_fma_f32 v39, 0xbf167918, v39, -v9
	v_add_f32_e32 v4, v15, v12
	v_add_f32_e32 v5, v38, v23
	;; [unrolled: 1-line block ×8, first 2 shown]
	v_sub_f32_e32 v12, v15, v12
	v_sub_f32_e32 v14, v47, v13
	;; [unrolled: 1-line block ×8, first 2 shown]
	ds_write2_b64 v27, v[0:1], v[4:5] offset1:52
	ds_write2_b64 v27, v[6:7], v[8:9] offset0:104 offset1:156
	ds_write2_b64 v59, v[10:11], v[2:3] offset0:80 offset1:132
	;; [unrolled: 1-line block ×4, first 2 shown]
	s_waitcnt lgkmcnt(0)
	s_barrier
	buffer_gl0_inv
	ds_read2_b64 v[4:7], v24 offset1:156
	ds_read2_b64 v[0:3], v31 offset0:24 offset1:232
	ds_read2_b64 v[8:11], v32 offset0:16 offset1:172
	ds_read2_b64 v[12:15], v33 offset0:36 offset1:192
	ds_read_b64 v[26:27], v24 offset:10816
	s_and_saveexec_b32 s1, s0
	s_cbranch_execz .LBB0_15
; %bb.14:
	ds_read_b64 v[22:23], v24 offset:3744
	ds_read_b64 v[20:21], v24 offset:7904
	;; [unrolled: 1-line block ×3, first 2 shown]
.LBB0_15:
	s_or_b32 exec_lo, exec_lo, s1
	s_and_saveexec_b32 s1, vcc_lo
	s_cbranch_execz .LBB0_18
; %bb.16:
	v_lshlrev_b32_e32 v24, 1, v30
	v_mov_b32_e32 v25, 0
	v_add_nc_u32_e32 v61, 0x410, v34
	v_add_nc_u32_e32 v60, 0x208, v34
	v_mad_u64_u32 v[47:48], null, s2, v29, 0
	v_lshlrev_b64 v[31:32], 3, v[24:25]
	v_lshlrev_b32_e32 v24, 1, v29
	v_add_nc_u32_e32 v62, 0x2a4, v34
	v_add_nc_u32_e32 v63, 0x4ac, v34
	v_mul_hi_u32 v33, 0xfc0fc0fd, v30
	v_mad_u64_u32 v[51:52], null, s2, v61, 0
	v_add_co_u32 v31, vcc_lo, s8, v31
	v_add_co_ci_u32_e32 v32, vcc_lo, s9, v32, vcc_lo
	v_lshlrev_b64 v[39:40], 3, v[24:25]
	v_add_co_u32 v31, vcc_lo, 0x800, v31
	v_add_co_ci_u32_e32 v32, vcc_lo, 0, v32, vcc_lo
	v_lshlrev_b32_e32 v24, 1, v34
	v_mad_u64_u32 v[49:50], null, s2, v60, 0
	global_load_dwordx4 v[35:38], v[31:32], off offset:2008
	v_add_co_u32 v31, vcc_lo, s8, v39
	v_add_co_ci_u32_e32 v32, vcc_lo, s9, v40, vcc_lo
	v_lshlrev_b64 v[43:44], 3, v[24:25]
	v_add_co_u32 v31, vcc_lo, 0x800, v31
	v_add_co_ci_u32_e32 v32, vcc_lo, 0, v32, vcc_lo
	v_mad_u64_u32 v[53:54], null, s2, v62, 0
	v_add_co_u32 v24, vcc_lo, s8, v43
	global_load_dwordx4 v[39:42], v[31:32], off offset:2008
	v_add_co_ci_u32_e32 v32, vcc_lo, s9, v44, vcc_lo
	v_add_co_u32 v31, vcc_lo, 0x800, v24
	v_mad_u64_u32 v[55:56], null, s2, v63, 0
	v_add_co_ci_u32_e32 v32, vcc_lo, 0, v32, vcc_lo
	v_add_co_u32 v16, vcc_lo, s12, v16
	v_add_co_ci_u32_e32 v17, vcc_lo, s13, v17, vcc_lo
	global_load_dwordx4 v[43:46], v[31:32], off offset:2008
	v_mad_u64_u32 v[31:32], null, s2, v34, 0
	v_mov_b32_e32 v24, v32
	v_mov_b32_e32 v32, v48
	v_lshrrev_b32_e32 v48, 9, v33
	v_mov_b32_e32 v33, v52
	v_mad_u64_u32 v[57:58], null, s3, v34, v[24:25]
	v_mov_b32_e32 v24, v50
	v_mad_u64_u32 v[58:59], null, s3, v29, v[32:33]
	v_mov_b32_e32 v29, v54
	v_mov_b32_e32 v32, v56
	v_mad_u32_u24 v66, 0x410, v48, v30
	v_mad_u64_u32 v[59:60], null, s3, v60, v[24:25]
	v_mad_u64_u32 v[60:61], null, s3, v61, v[33:34]
	;; [unrolled: 1-line block ×5, first 2 shown]
	v_add_nc_u32_e32 v67, 0x208, v66
	v_add_nc_u32_e32 v68, 0x410, v66
	v_mov_b32_e32 v32, v57
	v_mov_b32_e32 v48, v58
	;; [unrolled: 1-line block ×3, first 2 shown]
	v_mad_u64_u32 v[57:58], null, s2, v67, 0
	v_mad_u64_u32 v[64:65], null, s2, v68, 0
	v_lshlrev_b64 v[30:31], 3, v[31:32]
	v_mov_b32_e32 v52, v60
	v_mov_b32_e32 v54, v29
	;; [unrolled: 1-line block ×4, first 2 shown]
	v_lshlrev_b64 v[32:33], 3, v[47:48]
	v_lshlrev_b64 v[47:48], 3, v[49:50]
	;; [unrolled: 1-line block ×5, first 2 shown]
	v_mad_u64_u32 v[55:56], null, s3, v66, v[24:25]
	v_mov_b32_e32 v24, v58
	v_mov_b32_e32 v29, v65
	v_add_co_u32 v30, vcc_lo, v16, v30
	v_add_co_ci_u32_e32 v31, vcc_lo, v17, v31, vcc_lo
	v_mad_u64_u32 v[58:59], null, s3, v67, v[24:25]
	v_mad_u64_u32 v[59:60], null, s3, v68, v[29:30]
	v_add_co_u32 v32, vcc_lo, v16, v32
	v_add_co_ci_u32_e32 v33, vcc_lo, v17, v33, vcc_lo
	v_add_co_u32 v47, vcc_lo, v16, v47
	v_mov_b32_e32 v63, v55
	v_add_co_ci_u32_e32 v48, vcc_lo, v17, v48, vcc_lo
	v_add_co_u32 v49, vcc_lo, v16, v49
	v_add_co_ci_u32_e32 v50, vcc_lo, v17, v50, vcc_lo
	v_add_co_u32 v51, vcc_lo, v16, v51
	v_lshlrev_b64 v[55:56], 3, v[62:63]
	v_mov_b32_e32 v65, v59
	v_add_co_ci_u32_e32 v52, vcc_lo, v17, v52, vcc_lo
	v_add_co_u32 v53, vcc_lo, v16, v53
	v_lshlrev_b64 v[57:58], 3, v[57:58]
	v_add_co_ci_u32_e32 v54, vcc_lo, v17, v54, vcc_lo
	v_lshlrev_b64 v[59:60], 3, v[64:65]
	v_add_co_u32 v55, vcc_lo, v16, v55
	v_add_co_ci_u32_e32 v56, vcc_lo, v17, v56, vcc_lo
	v_add_co_u32 v57, vcc_lo, v16, v57
	v_add_co_ci_u32_e32 v58, vcc_lo, v17, v58, vcc_lo
	v_add_co_u32 v59, vcc_lo, v16, v59
	v_add_co_ci_u32_e32 v60, vcc_lo, v17, v60, vcc_lo
	s_waitcnt vmcnt(2) lgkmcnt(0)
	v_mul_f32_e32 v24, v37, v27
	v_mul_f32_e32 v29, v35, v15
	;; [unrolled: 1-line block ×4, first 2 shown]
	v_fmac_f32_e32 v24, v38, v26
	v_fmac_f32_e32 v29, v36, v14
	v_fma_f32 v14, v35, v14, -v15
	v_fma_f32 v15, v37, v26, -v27
	v_add_f32_e32 v37, v1, v29
	v_add_f32_e32 v38, v0, v14
	s_waitcnt vmcnt(1)
	v_mul_f32_e32 v26, v40, v13
	v_mul_f32_e32 v27, v42, v11
	;; [unrolled: 1-line block ×4, first 2 shown]
	v_sub_f32_e32 v40, v14, v15
	v_add_f32_e32 v14, v15, v14
	v_fma_f32 v12, v39, v12, -v26
	v_fma_f32 v26, v41, v10, -v27
	v_fmac_f32_e32 v35, v39, v13
	v_fmac_f32_e32 v36, v41, v11
	v_add_f32_e32 v10, v15, v38
	v_fmac_f32_e32 v0, -0.5, v14
	v_add_f32_e32 v15, v12, v26
	s_waitcnt vmcnt(0)
	v_mul_f32_e32 v13, v44, v3
	v_mul_f32_e32 v27, v46, v9
	;; [unrolled: 1-line block ×4, first 2 shown]
	v_add_f32_e32 v14, v35, v36
	v_fma_f32 v13, v43, v2, -v13
	v_fma_f32 v27, v45, v8, -v27
	v_fmac_f32_e32 v39, v43, v3
	v_fmac_f32_e32 v41, v45, v9
	v_add_f32_e32 v42, v24, v29
	v_sub_f32_e32 v29, v29, v24
	v_add_f32_e32 v11, v24, v37
	v_sub_f32_e32 v24, v12, v26
	v_sub_f32_e32 v37, v35, v36
	v_add_f32_e32 v35, v7, v35
	v_add_f32_e32 v12, v6, v12
	v_fma_f32 v7, -0.5, v14, v7
	v_fma_f32 v6, -0.5, v15, v6
	v_add_f32_e32 v14, v39, v41
	v_add_f32_e32 v15, v13, v27
	;; [unrolled: 1-line block ×6, first 2 shown]
	v_fmamk_f32 v2, v29, 0xbf5db3d7, v0
	v_fmac_f32_e32 v0, 0x3f5db3d7, v29
	v_sub_f32_e32 v12, v13, v27
	v_sub_f32_e32 v29, v39, v41
	v_fma_f32 v5, -0.5, v14, v5
	v_fma_f32 v4, -0.5, v15, v4
	;; [unrolled: 1-line block ×3, first 2 shown]
	v_add_f32_e32 v15, v26, v41
	v_add_f32_e32 v14, v35, v27
	v_fmamk_f32 v27, v12, 0x3f5db3d7, v5
	v_fmamk_f32 v26, v29, 0xbf5db3d7, v4
	v_fmac_f32_e32 v5, 0xbf5db3d7, v12
	v_fmac_f32_e32 v4, 0x3f5db3d7, v29
	v_fmamk_f32 v13, v24, 0x3f5db3d7, v7
	v_fmamk_f32 v12, v37, 0xbf5db3d7, v6
	v_fmac_f32_e32 v7, 0xbf5db3d7, v24
	v_fmac_f32_e32 v6, 0x3f5db3d7, v37
	v_fmamk_f32 v3, v40, 0x3f5db3d7, v1
	v_fmac_f32_e32 v1, 0xbf5db3d7, v40
	global_store_dwordx2 v[30:31], v[14:15], off
	global_store_dwordx2 v[47:48], v[4:5], off
	;; [unrolled: 1-line block ×9, first 2 shown]
	s_and_b32 exec_lo, exec_lo, s0
	s_cbranch_execz .LBB0_18
; %bb.17:
	v_subrev_nc_u32_e32 v0, 52, v34
	v_add_nc_u32_e32 v12, 0x3dc, v34
	v_add_nc_u32_e32 v13, 0x5e4, v34
	v_mad_u64_u32 v[4:5], null, s2, v28, 0
	v_cndmask_b32_e64 v0, v0, v28, s0
	v_mad_u64_u32 v[6:7], null, s2, v12, 0
	v_mad_u64_u32 v[8:9], null, s2, v13, 0
	v_lshlrev_b32_e32 v24, 1, v0
	v_mad_u64_u32 v[10:11], null, s3, v28, v[5:6]
	v_lshlrev_b64 v[0:1], 3, v[24:25]
	v_mad_u64_u32 v[11:12], null, s3, v12, v[7:8]
	v_add_co_u32 v0, vcc_lo, s8, v0
	v_add_co_ci_u32_e32 v1, vcc_lo, s9, v1, vcc_lo
	v_mad_u64_u32 v[12:13], null, s3, v13, v[9:10]
	v_add_co_u32 v0, vcc_lo, 0x800, v0
	v_add_co_ci_u32_e32 v1, vcc_lo, 0, v1, vcc_lo
	v_mov_b32_e32 v5, v10
	v_mov_b32_e32 v7, v11
	;; [unrolled: 1-line block ×3, first 2 shown]
	global_load_dwordx4 v[0:3], v[0:1], off offset:2008
	v_lshlrev_b64 v[4:5], 3, v[4:5]
	v_lshlrev_b64 v[6:7], 3, v[6:7]
	;; [unrolled: 1-line block ×3, first 2 shown]
	v_add_co_u32 v4, vcc_lo, v16, v4
	v_add_co_ci_u32_e32 v5, vcc_lo, v17, v5, vcc_lo
	v_add_co_u32 v6, vcc_lo, v16, v6
	v_add_co_ci_u32_e32 v7, vcc_lo, v17, v7, vcc_lo
	s_waitcnt vmcnt(0)
	v_mul_f32_e32 v10, v21, v1
	v_mul_f32_e32 v11, v20, v1
	;; [unrolled: 1-line block ×4, first 2 shown]
	v_fma_f32 v10, v20, v0, -v10
	v_fmac_f32_e32 v11, v21, v0
	v_fma_f32 v12, v18, v2, -v1
	v_fmac_f32_e32 v3, v19, v2
	v_add_co_u32 v0, vcc_lo, v16, v8
	v_add_co_ci_u32_e32 v1, vcc_lo, v17, v9, vcc_lo
	v_add_f32_e32 v2, v10, v12
	v_add_f32_e32 v9, v11, v3
	;; [unrolled: 1-line block ×3, first 2 shown]
	v_sub_f32_e32 v13, v11, v3
	v_add_f32_e32 v11, v23, v11
	v_fmac_f32_e32 v22, -0.5, v2
	v_sub_f32_e32 v10, v10, v12
	v_fmac_f32_e32 v23, -0.5, v9
	v_add_f32_e32 v2, v8, v12
	v_add_f32_e32 v3, v11, v3
	v_fmamk_f32 v8, v13, 0x3f5db3d7, v22
	v_fmac_f32_e32 v22, 0xbf5db3d7, v13
	v_fmamk_f32 v9, v10, 0xbf5db3d7, v23
	v_fmac_f32_e32 v23, 0x3f5db3d7, v10
	global_store_dwordx2 v[4:5], v[2:3], off
	global_store_dwordx2 v[6:7], v[8:9], off
	;; [unrolled: 1-line block ×3, first 2 shown]
.LBB0_18:
	s_endpgm
	.section	.rodata,"a",@progbits
	.p2align	6, 0x0
	.amdhsa_kernel fft_rtc_fwd_len1560_factors_13_2_2_10_3_wgs_156_tpt_156_sp_ip_CI_sbrr_dirReg
		.amdhsa_group_segment_fixed_size 0
		.amdhsa_private_segment_fixed_size 0
		.amdhsa_kernarg_size 88
		.amdhsa_user_sgpr_count 6
		.amdhsa_user_sgpr_private_segment_buffer 1
		.amdhsa_user_sgpr_dispatch_ptr 0
		.amdhsa_user_sgpr_queue_ptr 0
		.amdhsa_user_sgpr_kernarg_segment_ptr 1
		.amdhsa_user_sgpr_dispatch_id 0
		.amdhsa_user_sgpr_flat_scratch_init 0
		.amdhsa_user_sgpr_private_segment_size 0
		.amdhsa_wavefront_size32 1
		.amdhsa_uses_dynamic_stack 0
		.amdhsa_system_sgpr_private_segment_wavefront_offset 0
		.amdhsa_system_sgpr_workgroup_id_x 1
		.amdhsa_system_sgpr_workgroup_id_y 0
		.amdhsa_system_sgpr_workgroup_id_z 0
		.amdhsa_system_sgpr_workgroup_info 0
		.amdhsa_system_vgpr_workitem_id 0
		.amdhsa_next_free_vgpr 123
		.amdhsa_next_free_sgpr 23
		.amdhsa_reserve_vcc 1
		.amdhsa_reserve_flat_scratch 0
		.amdhsa_float_round_mode_32 0
		.amdhsa_float_round_mode_16_64 0
		.amdhsa_float_denorm_mode_32 3
		.amdhsa_float_denorm_mode_16_64 3
		.amdhsa_dx10_clamp 1
		.amdhsa_ieee_mode 1
		.amdhsa_fp16_overflow 0
		.amdhsa_workgroup_processor_mode 1
		.amdhsa_memory_ordered 1
		.amdhsa_forward_progress 0
		.amdhsa_shared_vgpr_count 0
		.amdhsa_exception_fp_ieee_invalid_op 0
		.amdhsa_exception_fp_denorm_src 0
		.amdhsa_exception_fp_ieee_div_zero 0
		.amdhsa_exception_fp_ieee_overflow 0
		.amdhsa_exception_fp_ieee_underflow 0
		.amdhsa_exception_fp_ieee_inexact 0
		.amdhsa_exception_int_div_zero 0
	.end_amdhsa_kernel
	.text
.Lfunc_end0:
	.size	fft_rtc_fwd_len1560_factors_13_2_2_10_3_wgs_156_tpt_156_sp_ip_CI_sbrr_dirReg, .Lfunc_end0-fft_rtc_fwd_len1560_factors_13_2_2_10_3_wgs_156_tpt_156_sp_ip_CI_sbrr_dirReg
                                        ; -- End function
	.section	.AMDGPU.csdata,"",@progbits
; Kernel info:
; codeLenInByte = 9052
; NumSgprs: 25
; NumVgprs: 123
; ScratchSize: 0
; MemoryBound: 0
; FloatMode: 240
; IeeeMode: 1
; LDSByteSize: 0 bytes/workgroup (compile time only)
; SGPRBlocks: 3
; VGPRBlocks: 15
; NumSGPRsForWavesPerEU: 25
; NumVGPRsForWavesPerEU: 123
; Occupancy: 8
; WaveLimiterHint : 1
; COMPUTE_PGM_RSRC2:SCRATCH_EN: 0
; COMPUTE_PGM_RSRC2:USER_SGPR: 6
; COMPUTE_PGM_RSRC2:TRAP_HANDLER: 0
; COMPUTE_PGM_RSRC2:TGID_X_EN: 1
; COMPUTE_PGM_RSRC2:TGID_Y_EN: 0
; COMPUTE_PGM_RSRC2:TGID_Z_EN: 0
; COMPUTE_PGM_RSRC2:TIDIG_COMP_CNT: 0
	.text
	.p2alignl 6, 3214868480
	.fill 48, 4, 3214868480
	.type	__hip_cuid_6b4680ec14ca5622,@object ; @__hip_cuid_6b4680ec14ca5622
	.section	.bss,"aw",@nobits
	.globl	__hip_cuid_6b4680ec14ca5622
__hip_cuid_6b4680ec14ca5622:
	.byte	0                               ; 0x0
	.size	__hip_cuid_6b4680ec14ca5622, 1

	.ident	"AMD clang version 19.0.0git (https://github.com/RadeonOpenCompute/llvm-project roc-6.4.0 25133 c7fe45cf4b819c5991fe208aaa96edf142730f1d)"
	.section	".note.GNU-stack","",@progbits
	.addrsig
	.addrsig_sym __hip_cuid_6b4680ec14ca5622
	.amdgpu_metadata
---
amdhsa.kernels:
  - .args:
      - .actual_access:  read_only
        .address_space:  global
        .offset:         0
        .size:           8
        .value_kind:     global_buffer
      - .offset:         8
        .size:           8
        .value_kind:     by_value
      - .actual_access:  read_only
        .address_space:  global
        .offset:         16
        .size:           8
        .value_kind:     global_buffer
      - .actual_access:  read_only
        .address_space:  global
        .offset:         24
        .size:           8
        .value_kind:     global_buffer
      - .offset:         32
        .size:           8
        .value_kind:     by_value
      - .actual_access:  read_only
        .address_space:  global
        .offset:         40
        .size:           8
        .value_kind:     global_buffer
      - .actual_access:  read_only
        .address_space:  global
        .offset:         48
        .size:           8
        .value_kind:     global_buffer
      - .offset:         56
        .size:           4
        .value_kind:     by_value
      - .actual_access:  read_only
        .address_space:  global
        .offset:         64
        .size:           8
        .value_kind:     global_buffer
      - .actual_access:  read_only
        .address_space:  global
        .offset:         72
        .size:           8
        .value_kind:     global_buffer
      - .address_space:  global
        .offset:         80
        .size:           8
        .value_kind:     global_buffer
    .group_segment_fixed_size: 0
    .kernarg_segment_align: 8
    .kernarg_segment_size: 88
    .language:       OpenCL C
    .language_version:
      - 2
      - 0
    .max_flat_workgroup_size: 156
    .name:           fft_rtc_fwd_len1560_factors_13_2_2_10_3_wgs_156_tpt_156_sp_ip_CI_sbrr_dirReg
    .private_segment_fixed_size: 0
    .sgpr_count:     25
    .sgpr_spill_count: 0
    .symbol:         fft_rtc_fwd_len1560_factors_13_2_2_10_3_wgs_156_tpt_156_sp_ip_CI_sbrr_dirReg.kd
    .uniform_work_group_size: 1
    .uses_dynamic_stack: false
    .vgpr_count:     123
    .vgpr_spill_count: 0
    .wavefront_size: 32
    .workgroup_processor_mode: 1
amdhsa.target:   amdgcn-amd-amdhsa--gfx1030
amdhsa.version:
  - 1
  - 2
...

	.end_amdgpu_metadata
